;; amdgpu-corpus repo=ROCm/rocFFT kind=compiled arch=gfx906 opt=O3
	.text
	.amdgcn_target "amdgcn-amd-amdhsa--gfx906"
	.amdhsa_code_object_version 6
	.protected	fft_rtc_fwd_len4096_factors_16_16_16_wgs_256_tpt_256_halfLds_sp_ip_CI_unitstride_sbrr_dirReg ; -- Begin function fft_rtc_fwd_len4096_factors_16_16_16_wgs_256_tpt_256_halfLds_sp_ip_CI_unitstride_sbrr_dirReg
	.globl	fft_rtc_fwd_len4096_factors_16_16_16_wgs_256_tpt_256_halfLds_sp_ip_CI_unitstride_sbrr_dirReg
	.p2align	8
	.type	fft_rtc_fwd_len4096_factors_16_16_16_wgs_256_tpt_256_halfLds_sp_ip_CI_unitstride_sbrr_dirReg,@function
fft_rtc_fwd_len4096_factors_16_16_16_wgs_256_tpt_256_halfLds_sp_ip_CI_unitstride_sbrr_dirReg: ; @fft_rtc_fwd_len4096_factors_16_16_16_wgs_256_tpt_256_halfLds_sp_ip_CI_unitstride_sbrr_dirReg
; %bb.0:
	s_load_dwordx4 s[8:11], s[4:5], 0x0
	s_load_dwordx2 s[2:3], s[4:5], 0x50
	s_load_dwordx2 s[12:13], s[4:5], 0x18
	v_mov_b32_e32 v3, 0
	v_mov_b32_e32 v1, 0
	s_waitcnt lgkmcnt(0)
	v_cmp_lt_u64_e64 s[0:1], s[10:11], 2
	v_mov_b32_e32 v5, s6
	v_mov_b32_e32 v6, v3
	s_and_b64 vcc, exec, s[0:1]
	v_mov_b32_e32 v2, 0
	s_cbranch_vccnz .LBB0_8
; %bb.1:
	s_load_dwordx2 s[0:1], s[4:5], 0x10
	s_add_u32 s6, s12, 8
	s_addc_u32 s7, s13, 0
	v_mov_b32_e32 v1, 0
	v_mov_b32_e32 v2, 0
	s_waitcnt lgkmcnt(0)
	s_add_u32 s14, s0, 8
	s_addc_u32 s15, s1, 0
	s_mov_b64 s[16:17], 1
.LBB0_2:                                ; =>This Inner Loop Header: Depth=1
	s_load_dwordx2 s[18:19], s[14:15], 0x0
                                        ; implicit-def: $vgpr11_vgpr12
	s_waitcnt lgkmcnt(0)
	v_or_b32_e32 v4, s19, v6
	v_cmp_ne_u64_e32 vcc, 0, v[3:4]
	s_and_saveexec_b64 s[0:1], vcc
	s_xor_b64 s[20:21], exec, s[0:1]
	s_cbranch_execz .LBB0_4
; %bb.3:                                ;   in Loop: Header=BB0_2 Depth=1
	v_cvt_f32_u32_e32 v4, s18
	v_cvt_f32_u32_e32 v7, s19
	s_sub_u32 s0, 0, s18
	s_subb_u32 s1, 0, s19
	v_mac_f32_e32 v4, 0x4f800000, v7
	v_rcp_f32_e32 v4, v4
	v_mul_f32_e32 v4, 0x5f7ffffc, v4
	v_mul_f32_e32 v7, 0x2f800000, v4
	v_trunc_f32_e32 v7, v7
	v_mac_f32_e32 v4, 0xcf800000, v7
	v_cvt_u32_f32_e32 v7, v7
	v_cvt_u32_f32_e32 v4, v4
	v_mul_lo_u32 v8, s0, v7
	v_mul_hi_u32 v9, s0, v4
	v_mul_lo_u32 v11, s1, v4
	v_mul_lo_u32 v10, s0, v4
	v_add_u32_e32 v8, v9, v8
	v_add_u32_e32 v8, v8, v11
	v_mul_hi_u32 v9, v4, v10
	v_mul_lo_u32 v11, v4, v8
	v_mul_hi_u32 v13, v4, v8
	v_mul_hi_u32 v12, v7, v10
	v_mul_lo_u32 v10, v7, v10
	v_mul_hi_u32 v14, v7, v8
	v_add_co_u32_e32 v9, vcc, v9, v11
	v_addc_co_u32_e32 v11, vcc, 0, v13, vcc
	v_mul_lo_u32 v8, v7, v8
	v_add_co_u32_e32 v9, vcc, v9, v10
	v_addc_co_u32_e32 v9, vcc, v11, v12, vcc
	v_addc_co_u32_e32 v10, vcc, 0, v14, vcc
	v_add_co_u32_e32 v8, vcc, v9, v8
	v_addc_co_u32_e32 v9, vcc, 0, v10, vcc
	v_add_co_u32_e32 v4, vcc, v4, v8
	v_addc_co_u32_e32 v7, vcc, v7, v9, vcc
	v_mul_lo_u32 v8, s0, v7
	v_mul_hi_u32 v9, s0, v4
	v_mul_lo_u32 v10, s1, v4
	v_mul_lo_u32 v11, s0, v4
	v_add_u32_e32 v8, v9, v8
	v_add_u32_e32 v8, v8, v10
	v_mul_lo_u32 v12, v4, v8
	v_mul_hi_u32 v13, v4, v11
	v_mul_hi_u32 v14, v4, v8
	;; [unrolled: 1-line block ×3, first 2 shown]
	v_mul_lo_u32 v11, v7, v11
	v_mul_hi_u32 v9, v7, v8
	v_add_co_u32_e32 v12, vcc, v13, v12
	v_addc_co_u32_e32 v13, vcc, 0, v14, vcc
	v_mul_lo_u32 v8, v7, v8
	v_add_co_u32_e32 v11, vcc, v12, v11
	v_addc_co_u32_e32 v10, vcc, v13, v10, vcc
	v_addc_co_u32_e32 v9, vcc, 0, v9, vcc
	v_add_co_u32_e32 v8, vcc, v10, v8
	v_addc_co_u32_e32 v9, vcc, 0, v9, vcc
	v_add_co_u32_e32 v4, vcc, v4, v8
	v_addc_co_u32_e32 v9, vcc, v7, v9, vcc
	v_mad_u64_u32 v[7:8], s[0:1], v5, v9, 0
	v_mul_hi_u32 v10, v5, v4
	v_add_co_u32_e32 v11, vcc, v10, v7
	v_addc_co_u32_e32 v12, vcc, 0, v8, vcc
	v_mad_u64_u32 v[7:8], s[0:1], v6, v4, 0
	v_mad_u64_u32 v[9:10], s[0:1], v6, v9, 0
	v_add_co_u32_e32 v4, vcc, v11, v7
	v_addc_co_u32_e32 v4, vcc, v12, v8, vcc
	v_addc_co_u32_e32 v7, vcc, 0, v10, vcc
	v_add_co_u32_e32 v4, vcc, v4, v9
	v_addc_co_u32_e32 v9, vcc, 0, v7, vcc
	v_mul_lo_u32 v10, s19, v4
	v_mul_lo_u32 v11, s18, v9
	v_mad_u64_u32 v[7:8], s[0:1], s18, v4, 0
	v_add3_u32 v8, v8, v11, v10
	v_sub_u32_e32 v10, v6, v8
	v_mov_b32_e32 v11, s19
	v_sub_co_u32_e32 v7, vcc, v5, v7
	v_subb_co_u32_e64 v10, s[0:1], v10, v11, vcc
	v_subrev_co_u32_e64 v11, s[0:1], s18, v7
	v_subbrev_co_u32_e64 v10, s[0:1], 0, v10, s[0:1]
	v_cmp_le_u32_e64 s[0:1], s19, v10
	v_cndmask_b32_e64 v12, 0, -1, s[0:1]
	v_cmp_le_u32_e64 s[0:1], s18, v11
	v_cndmask_b32_e64 v11, 0, -1, s[0:1]
	v_cmp_eq_u32_e64 s[0:1], s19, v10
	v_cndmask_b32_e64 v10, v12, v11, s[0:1]
	v_add_co_u32_e64 v11, s[0:1], 2, v4
	v_addc_co_u32_e64 v12, s[0:1], 0, v9, s[0:1]
	v_add_co_u32_e64 v13, s[0:1], 1, v4
	v_addc_co_u32_e64 v14, s[0:1], 0, v9, s[0:1]
	v_subb_co_u32_e32 v8, vcc, v6, v8, vcc
	v_cmp_ne_u32_e64 s[0:1], 0, v10
	v_cmp_le_u32_e32 vcc, s19, v8
	v_cndmask_b32_e64 v10, v14, v12, s[0:1]
	v_cndmask_b32_e64 v12, 0, -1, vcc
	v_cmp_le_u32_e32 vcc, s18, v7
	v_cndmask_b32_e64 v7, 0, -1, vcc
	v_cmp_eq_u32_e32 vcc, s19, v8
	v_cndmask_b32_e32 v7, v12, v7, vcc
	v_cmp_ne_u32_e32 vcc, 0, v7
	v_cndmask_b32_e64 v7, v13, v11, s[0:1]
	v_cndmask_b32_e32 v12, v9, v10, vcc
	v_cndmask_b32_e32 v11, v4, v7, vcc
.LBB0_4:                                ;   in Loop: Header=BB0_2 Depth=1
	s_andn2_saveexec_b64 s[0:1], s[20:21]
	s_cbranch_execz .LBB0_6
; %bb.5:                                ;   in Loop: Header=BB0_2 Depth=1
	v_cvt_f32_u32_e32 v4, s18
	s_sub_i32 s20, 0, s18
	v_mov_b32_e32 v12, v3
	v_rcp_iflag_f32_e32 v4, v4
	v_mul_f32_e32 v4, 0x4f7ffffe, v4
	v_cvt_u32_f32_e32 v4, v4
	v_mul_lo_u32 v7, s20, v4
	v_mul_hi_u32 v7, v4, v7
	v_add_u32_e32 v4, v4, v7
	v_mul_hi_u32 v4, v5, v4
	v_mul_lo_u32 v7, v4, s18
	v_add_u32_e32 v8, 1, v4
	v_sub_u32_e32 v7, v5, v7
	v_subrev_u32_e32 v9, s18, v7
	v_cmp_le_u32_e32 vcc, s18, v7
	v_cndmask_b32_e32 v7, v7, v9, vcc
	v_cndmask_b32_e32 v4, v4, v8, vcc
	v_add_u32_e32 v8, 1, v4
	v_cmp_le_u32_e32 vcc, s18, v7
	v_cndmask_b32_e32 v11, v4, v8, vcc
.LBB0_6:                                ;   in Loop: Header=BB0_2 Depth=1
	s_or_b64 exec, exec, s[0:1]
	v_mul_lo_u32 v4, v12, s18
	v_mul_lo_u32 v9, v11, s19
	v_mad_u64_u32 v[7:8], s[0:1], v11, s18, 0
	s_load_dwordx2 s[0:1], s[6:7], 0x0
	s_add_u32 s16, s16, 1
	v_add3_u32 v4, v8, v9, v4
	v_sub_co_u32_e32 v5, vcc, v5, v7
	v_subb_co_u32_e32 v4, vcc, v6, v4, vcc
	s_waitcnt lgkmcnt(0)
	v_mul_lo_u32 v4, s0, v4
	v_mul_lo_u32 v6, s1, v5
	v_mad_u64_u32 v[1:2], s[0:1], s0, v5, v[1:2]
	s_addc_u32 s17, s17, 0
	s_add_u32 s6, s6, 8
	v_add3_u32 v2, v6, v2, v4
	v_mov_b32_e32 v4, s10
	v_mov_b32_e32 v5, s11
	s_addc_u32 s7, s7, 0
	v_cmp_ge_u64_e32 vcc, s[16:17], v[4:5]
	s_add_u32 s14, s14, 8
	s_addc_u32 s15, s15, 0
	s_cbranch_vccnz .LBB0_9
; %bb.7:                                ;   in Loop: Header=BB0_2 Depth=1
	v_mov_b32_e32 v5, v11
	v_mov_b32_e32 v6, v12
	s_branch .LBB0_2
.LBB0_8:
	v_mov_b32_e32 v12, v6
	v_mov_b32_e32 v11, v5
.LBB0_9:
	s_lshl_b64 s[0:1], s[10:11], 3
	s_add_u32 s0, s12, s0
	s_addc_u32 s1, s13, s1
	s_load_dwordx2 s[6:7], s[0:1], 0x0
	s_load_dwordx2 s[10:11], s[4:5], 0x20
	v_mov_b32_e32 v31, 0
	v_mov_b32_e32 v32, 0
	;; [unrolled: 1-line block ×3, first 2 shown]
	s_waitcnt lgkmcnt(0)
	v_mul_lo_u32 v3, s6, v12
	v_mul_lo_u32 v5, s7, v11
	v_mad_u64_u32 v[1:2], s[0:1], s6, v11, v[1:2]
	v_cmp_gt_u64_e32 vcc, s[10:11], v[11:12]
	v_mov_b32_e32 v21, v31
	v_add3_u32 v2, v5, v2, v3
	v_lshlrev_b64 v[1:2], 3, v[1:2]
	v_mov_b32_e32 v25, v31
	v_mov_b32_e32 v15, v31
	;; [unrolled: 1-line block ×13, first 2 shown]
                                        ; implicit-def: $vgpr34
                                        ; implicit-def: $vgpr6
                                        ; implicit-def: $vgpr10
                                        ; implicit-def: $vgpr4
                                        ; implicit-def: $vgpr24
                                        ; implicit-def: $vgpr8
                                        ; implicit-def: $vgpr20
                                        ; implicit-def: $vgpr28
	s_and_saveexec_b64 s[4:5], vcc
	s_cbranch_execz .LBB0_11
; %bb.10:
	v_mov_b32_e32 v3, s3
	v_add_co_u32_e64 v4, s[0:1], s2, v1
	v_addc_co_u32_e64 v3, s[0:1], v3, v2, s[0:1]
	v_lshlrev_b32_e32 v5, 3, v0
	v_add_co_u32_e64 v27, s[0:1], v4, v5
	v_addc_co_u32_e64 v28, s[0:1], 0, v3, s[0:1]
	v_or_b32_e32 v6, 0x1000, v5
	v_add_co_u32_e64 v35, s[0:1], v4, v6
	v_addc_co_u32_e64 v36, s[0:1], 0, v3, s[0:1]
	v_or_b32_e32 v6, 0x1800, v5
	;; [unrolled: 3-line block ×14, first 2 shown]
	v_add_co_u32_e64 v61, s[0:1], v4, v5
	v_addc_co_u32_e64 v62, s[0:1], 0, v3, s[0:1]
	global_load_dwordx2 v[31:32], v[27:28], off
	global_load_dwordx2 v[15:16], v[27:28], off offset:2048
	global_load_dwordx2 v[21:22], v[35:36], off
	global_load_dwordx2 v[11:12], v[37:38], off
	global_load_dwordx2 v[29:30], v[39:40], off
	global_load_dwordx2 v[17:18], v[41:42], off
	global_load_dwordx2 v[25:26], v[43:44], off
	global_load_dwordx2 v[13:14], v[45:46], off
	global_load_dwordx2 v[33:34], v[47:48], off
	global_load_dwordx2 v[5:6], v[49:50], off
	global_load_dwordx2 v[9:10], v[51:52], off
	global_load_dwordx2 v[3:4], v[53:54], off
	global_load_dwordx2 v[23:24], v[55:56], off
	global_load_dwordx2 v[7:8], v[57:58], off
	global_load_dwordx2 v[19:20], v[59:60], off
                                        ; kill: killed $vgpr41 killed $vgpr42
                                        ; kill: killed $vgpr47 killed $vgpr48
                                        ; kill: killed $vgpr49 killed $vgpr50
                                        ; kill: killed $vgpr51 killed $vgpr52
                                        ; kill: killed $vgpr39 killed $vgpr40
                                        ; kill: killed $vgpr45 killed $vgpr46
                                        ; kill: killed $vgpr53 killed $vgpr54
                                        ; kill: killed $vgpr55 killed $vgpr56
                                        ; kill: killed $vgpr35 killed $vgpr36
                                        ; kill: killed $vgpr57 killed $vgpr58
                                        ; kill: killed $vgpr37 killed $vgpr38
                                        ; kill: killed $vgpr43 killed $vgpr44
                                        ; kill: killed $vgpr59 killed $vgpr60
                                        ; kill: killed $vgpr27 killed $vgpr28
	global_load_dwordx2 v[27:28], v[61:62], off
	v_mov_b32_e32 v35, v0
.LBB0_11:
	s_or_b64 exec, exec, s[4:5]
	s_waitcnt vmcnt(7)
	v_sub_f32_e32 v33, v31, v33
	v_sub_f32_e32 v34, v32, v34
	s_waitcnt vmcnt(3)
	v_sub_f32_e32 v23, v29, v23
	v_sub_f32_e32 v24, v30, v24
	;; [unrolled: 1-line block ×4, first 2 shown]
	s_waitcnt vmcnt(1)
	v_sub_f32_e32 v19, v25, v19
	v_sub_f32_e32 v20, v26, v20
	v_fma_f32 v31, v31, 2.0, -v33
	v_fma_f32 v32, v32, 2.0, -v34
	;; [unrolled: 1-line block ×8, first 2 shown]
	v_sub_f32_e32 v4, v12, v4
	s_waitcnt vmcnt(0)
	v_sub_f32_e32 v28, v14, v28
	v_sub_f32_e32 v29, v31, v29
	;; [unrolled: 1-line block ×8, first 2 shown]
	v_fma_f32 v12, v12, 2.0, -v4
	v_sub_f32_e32 v27, v13, v27
	v_fma_f32 v14, v14, 2.0, -v28
	v_fma_f32 v31, v31, 2.0, -v29
	v_fma_f32 v32, v32, 2.0, -v30
	v_sub_f32_e32 v24, v33, v24
	v_add_f32_e32 v23, v23, v34
	v_fma_f32 v21, v21, 2.0, -v25
	v_fma_f32 v22, v22, 2.0, -v26
	v_sub_f32_e32 v6, v16, v6
	v_sub_f32_e32 v7, v17, v7
	v_fma_f32 v18, v18, 2.0, -v8
	v_fma_f32 v11, v11, 2.0, -v3
	;; [unrolled: 1-line block ×5, first 2 shown]
	v_sub_f32_e32 v20, v9, v20
	v_add_f32_e32 v19, v19, v10
	v_sub_f32_e32 v36, v5, v8
	v_sub_f32_e32 v8, v12, v14
	v_add_f32_e32 v14, v27, v4
	v_sub_f32_e32 v21, v31, v21
	v_sub_f32_e32 v27, v32, v22
	v_fma_f32 v17, v17, 2.0, -v7
	v_fma_f32 v9, v9, 2.0, -v20
	;; [unrolled: 1-line block ×3, first 2 shown]
	v_add_f32_e32 v37, v7, v6
	v_sub_f32_e32 v7, v11, v13
	v_sub_f32_e32 v13, v3, v28
	v_fma_f32 v22, v31, 2.0, -v21
	v_fma_f32 v28, v32, 2.0, -v27
	v_mov_b32_e32 v31, v33
	v_mov_b32_e32 v32, v34
	v_fmac_f32_e32 v31, 0xbf3504f3, v9
	v_fmac_f32_e32 v32, 0xbf3504f3, v10
	v_fma_f32 v15, v15, 2.0, -v5
	v_fma_f32 v16, v16, 2.0, -v6
	v_fmac_f32_e32 v31, 0xbf3504f3, v10
	v_fmac_f32_e32 v32, 0x3f3504f3, v9
	v_sub_f32_e32 v17, v15, v17
	v_sub_f32_e32 v18, v16, v18
	v_fma_f32 v5, v5, 2.0, -v36
	v_fma_f32 v10, v33, 2.0, -v31
	;; [unrolled: 1-line block ×3, first 2 shown]
	v_sub_f32_e32 v34, v29, v26
	v_mov_b32_e32 v39, v24
	v_mov_b32_e32 v40, v23
	v_fma_f32 v15, v15, 2.0, -v17
	v_fma_f32 v16, v16, 2.0, -v18
	;; [unrolled: 1-line block ×6, first 2 shown]
	v_add_f32_e32 v38, v30, v25
	v_fma_f32 v25, v29, 2.0, -v34
	v_fmac_f32_e32 v39, 0x3f3504f3, v20
	v_fmac_f32_e32 v40, 0x3f3504f3, v19
	v_mov_b32_e32 v29, v5
	v_fma_f32 v4, v4, 2.0, -v14
	v_fma_f32 v26, v30, 2.0, -v38
	v_fmac_f32_e32 v39, 0xbf3504f3, v19
	v_fmac_f32_e32 v40, 0x3f3504f3, v20
	v_sub_f32_e32 v19, v15, v11
	v_sub_f32_e32 v20, v16, v12
	v_fmac_f32_e32 v29, 0xbf3504f3, v3
	v_mov_b32_e32 v30, v6
	v_fma_f32 v9, v15, 2.0, -v19
	v_fma_f32 v11, v16, 2.0, -v20
	v_fmac_f32_e32 v30, 0xbf3504f3, v4
	v_fmac_f32_e32 v29, 0xbf3504f3, v4
	v_sub_f32_e32 v41, v17, v8
	v_mov_b32_e32 v44, v37
	v_fmac_f32_e32 v30, 0x3f3504f3, v3
	v_fma_f32 v12, v5, 2.0, -v29
	v_add_f32_e32 v42, v18, v7
	v_fma_f32 v16, v17, 2.0, -v41
	v_mov_b32_e32 v43, v36
	v_fmac_f32_e32 v44, 0x3f3504f3, v14
	v_sub_f32_e32 v3, v22, v9
	v_sub_f32_e32 v5, v28, v11
	v_mov_b32_e32 v11, v25
	v_fma_f32 v15, v6, 2.0, -v30
	v_fma_f32 v17, v18, 2.0, -v42
	v_fmac_f32_e32 v43, 0x3f3504f3, v13
	v_fmac_f32_e32 v44, 0x3f3504f3, v13
	v_fma_f32 v7, v22, 2.0, -v3
	v_mov_b32_e32 v6, v33
	v_fmac_f32_e32 v11, 0xbf3504f3, v16
	v_mov_b32_e32 v13, v26
	v_fma_f32 v22, v23, 2.0, -v40
	v_fmac_f32_e32 v43, 0xbf3504f3, v14
	v_mov_b32_e32 v4, v10
	v_fmac_f32_e32 v6, 0xbf6c835e, v15
	v_fmac_f32_e32 v13, 0xbf3504f3, v17
	;; [unrolled: 1-line block ×3, first 2 shown]
	v_fma_f32 v18, v24, 2.0, -v39
	v_fma_f32 v17, v37, 2.0, -v44
	v_mov_b32_e32 v14, v22
	v_fmac_f32_e32 v4, 0xbf6c835e, v12
	v_fmac_f32_e32 v6, 0x3ec3ef15, v12
	v_fma_f32 v23, v36, 2.0, -v43
	v_mov_b32_e32 v12, v18
	v_fmac_f32_e32 v14, 0xbec3ef15, v17
	v_fmac_f32_e32 v12, 0xbec3ef15, v23
	v_fmac_f32_e32 v14, 0x3f6c835e, v23
	v_sub_f32_e32 v20, v21, v20
	v_mov_b32_e32 v23, v32
	v_fma_f32 v24, v21, 2.0, -v20
	v_mov_b32_e32 v21, v31
	v_fmac_f32_e32 v23, 0x3ec3ef15, v30
	v_fma_f32 v9, v28, 2.0, -v5
	v_fmac_f32_e32 v21, 0x3ec3ef15, v29
	v_fmac_f32_e32 v23, 0x3f6c835e, v29
	v_mov_b32_e32 v28, v34
	v_mov_b32_e32 v29, v39
	v_fmac_f32_e32 v4, 0xbec3ef15, v15
	v_fmac_f32_e32 v12, 0xbf6c835e, v17
	;; [unrolled: 1-line block ×5, first 2 shown]
	v_fma_f32 v8, v10, 2.0, -v4
	v_fmac_f32_e32 v13, 0x3f3504f3, v16
	v_fma_f32 v15, v25, 2.0, -v11
	v_fma_f32 v16, v18, 2.0, -v12
	;; [unrolled: 1-line block ×3, first 2 shown]
	v_add_f32_e32 v22, v27, v19
	v_fma_f32 v25, v31, 2.0, -v21
	v_mov_b32_e32 v30, v38
	v_fmac_f32_e32 v28, 0xbf3504f3, v42
	v_mov_b32_e32 v31, v40
	v_fmac_f32_e32 v29, 0xbec3ef15, v44
	v_lshl_add_u32 v19, v0, 6, 0
	v_fma_f32 v10, v33, 2.0, -v6
	v_fma_f32 v17, v26, 2.0, -v13
	;; [unrolled: 1-line block ×4, first 2 shown]
	v_fmac_f32_e32 v30, 0x3f3504f3, v42
	v_fma_f32 v32, v34, 2.0, -v28
	v_fmac_f32_e32 v31, 0x3f6c835e, v44
	v_fma_f32 v33, v39, 2.0, -v29
	ds_write2_b64 v19, v[7:8], v[15:16] offset1:1
	ds_write2_b64 v19, v[24:25], v[32:33] offset0:2 offset1:3
	ds_write2_b64 v19, v[3:4], v[11:12] offset0:4 offset1:5
	;; [unrolled: 1-line block ×3, first 2 shown]
	s_movk_i32 s0, 0xffc4
	v_and_b32_e32 v3, 15, v0
	v_fmac_f32_e32 v30, 0x3f3504f3, v41
	v_fmac_f32_e32 v31, 0x3ec3ef15, v43
	v_mad_i32_i24 v7, v0, s0, v19
	v_mul_u32_u24_e32 v3, 15, v3
	v_fma_f32 v36, v38, 2.0, -v30
	v_fma_f32 v37, v40, 2.0, -v31
	s_waitcnt lgkmcnt(0)
	s_barrier
	ds_read2st64_b32 v[32:33], v7 offset1:4
	ds_read2st64_b32 v[40:41], v7 offset0:8 offset1:12
	ds_read2st64_b32 v[42:43], v7 offset0:16 offset1:20
	;; [unrolled: 1-line block ×7, first 2 shown]
	s_waitcnt lgkmcnt(0)
	s_barrier
	ds_write2_b64 v19, v[9:10], v[17:18] offset1:1
	ds_write2_b64 v19, v[26:27], v[36:37] offset0:2 offset1:3
	ds_write2_b64 v19, v[5:6], v[13:14] offset0:4 offset1:5
	;; [unrolled: 1-line block ×3, first 2 shown]
	v_lshlrev_b32_e32 v18, 3, v3
	s_waitcnt lgkmcnt(0)
	s_barrier
	global_load_dwordx4 v[3:6], v18, s[8:9]
	global_load_dwordx4 v[8:11], v18, s[8:9] offset:16
	global_load_dwordx4 v[12:15], v18, s[8:9] offset:32
	;; [unrolled: 1-line block ×6, first 2 shown]
	global_load_dwordx2 v[16:17], v18, s[8:9] offset:112
	ds_read2st64_b32 v[54:55], v7 offset1:4
	ds_read2st64_b32 v[56:57], v7 offset0:8 offset1:12
	s_waitcnt vmcnt(7) lgkmcnt(1)
	v_mul_f32_e32 v18, v55, v4
	v_fma_f32 v18, v33, v3, -v18
	v_mul_f32_e32 v33, v33, v4
	v_fmac_f32_e32 v33, v55, v3
	s_waitcnt lgkmcnt(0)
	v_mul_f32_e32 v3, v56, v6
	v_fma_f32 v34, v40, v5, -v3
	ds_read2st64_b32 v[3:4], v7 offset0:16 offset1:20
	v_mul_f32_e32 v40, v40, v6
	v_fmac_f32_e32 v40, v56, v5
	s_waitcnt vmcnt(6)
	v_mul_f32_e32 v5, v57, v9
	v_fma_f32 v55, v41, v8, -v5
	v_mul_f32_e32 v9, v41, v9
	s_waitcnt lgkmcnt(0)
	v_mul_f32_e32 v5, v3, v11
	v_fmac_f32_e32 v9, v57, v8
	v_fma_f32 v8, v42, v10, -v5
	ds_read2st64_b32 v[5:6], v7 offset0:24 offset1:28
	v_mul_f32_e32 v11, v42, v11
	v_fmac_f32_e32 v11, v3, v10
	s_waitcnt vmcnt(5)
	v_mul_f32_e32 v3, v4, v13
	v_fma_f32 v10, v43, v12, -v3
	v_mul_f32_e32 v13, v43, v13
	s_waitcnt lgkmcnt(0)
	v_mul_f32_e32 v3, v5, v15
	v_fmac_f32_e32 v13, v4, v12
	;; [unrolled: 11-line block ×5, first 2 shown]
	v_fma_f32 v28, v50, v30, -v5
	ds_read2st64_b32 v[5:6], v7 offset0:56 offset1:60
	v_mul_f32_e32 v31, v50, v31
	v_fmac_f32_e32 v31, v3, v30
	s_waitcnt vmcnt(1)
	v_mul_f32_e32 v3, v4, v37
	v_mul_f32_e32 v30, v51, v37
	v_fma_f32 v3, v51, v36, -v3
	v_fmac_f32_e32 v30, v4, v36
	v_mul_f32_e32 v36, v52, v39
	s_waitcnt lgkmcnt(0)
	v_mul_f32_e32 v4, v5, v39
	v_fmac_f32_e32 v36, v5, v38
	s_waitcnt vmcnt(0)
	v_mul_f32_e32 v5, v6, v17
	v_mul_f32_e32 v17, v53, v17
	v_fma_f32 v4, v52, v38, -v4
	v_fmac_f32_e32 v17, v6, v16
	v_sub_f32_e32 v6, v32, v20
	v_sub_f32_e32 v20, v54, v23
	v_sub_f32_e32 v28, v8, v28
	v_sub_f32_e32 v31, v11, v31
	v_fma_f32 v8, v8, 2.0, -v28
	v_sub_f32_e32 v27, v40, v27
	v_sub_f32_e32 v4, v12, v4
	v_add_f32_e32 v28, v20, v28
	v_fma_f32 v23, v54, 2.0, -v20
	v_fma_f32 v11, v11, 2.0, -v31
	v_sub_f32_e32 v24, v34, v24
	v_sub_f32_e32 v36, v15, v36
	v_fma_f32 v12, v12, 2.0, -v4
	v_sub_f32_e32 v31, v6, v31
	v_fma_f32 v20, v20, 2.0, -v28
	v_add_f32_e32 v4, v27, v4
	v_fma_f32 v5, v53, v16, -v5
	v_fma_f32 v16, v32, 2.0, -v6
	v_fma_f32 v32, v34, 2.0, -v24
	;; [unrolled: 1-line block ×5, first 2 shown]
	v_sub_f32_e32 v36, v24, v36
	v_fma_f32 v27, v27, 2.0, -v4
	v_mov_b32_e32 v38, v20
	v_fma_f32 v24, v24, 2.0, -v36
	v_mov_b32_e32 v37, v6
	v_fmac_f32_e32 v38, 0xbf3504f3, v27
	v_fmac_f32_e32 v37, 0xbf3504f3, v24
	;; [unrolled: 1-line block ×3, first 2 shown]
	v_mov_b32_e32 v24, v31
	v_fmac_f32_e32 v37, 0xbf3504f3, v27
	v_fmac_f32_e32 v24, 0x3f3504f3, v36
	v_mov_b32_e32 v27, v28
	v_fmac_f32_e32 v27, 0x3f3504f3, v4
	v_fmac_f32_e32 v24, 0xbf3504f3, v4
	v_sub_f32_e32 v4, v18, v22
	v_sub_f32_e32 v22, v33, v25
	;; [unrolled: 1-line block ×4, first 2 shown]
	v_fma_f32 v10, v10, 2.0, -v3
	v_sub_f32_e32 v29, v9, v29
	v_sub_f32_e32 v5, v14, v5
	v_add_f32_e32 v3, v22, v3
	v_fma_f32 v25, v33, 2.0, -v22
	v_fma_f32 v13, v13, 2.0, -v30
	v_sub_f32_e32 v26, v55, v26
	v_sub_f32_e32 v17, v21, v17
	v_fma_f32 v14, v14, 2.0, -v5
	v_sub_f32_e32 v30, v4, v30
	v_fma_f32 v22, v22, 2.0, -v3
	v_add_f32_e32 v5, v29, v5
	v_fma_f32 v18, v18, 2.0, -v4
	v_fma_f32 v9, v9, 2.0, -v29
	;; [unrolled: 1-line block ×4, first 2 shown]
	v_sub_f32_e32 v17, v26, v17
	v_fma_f32 v29, v29, 2.0, -v5
	v_mov_b32_e32 v39, v22
	v_fma_f32 v33, v55, 2.0, -v26
	v_fma_f32 v26, v26, 2.0, -v17
	v_fmac_f32_e32 v27, 0x3f3504f3, v36
	v_mov_b32_e32 v36, v4
	v_fmac_f32_e32 v39, 0xbf3504f3, v29
	v_fmac_f32_e32 v36, 0xbf3504f3, v26
	;; [unrolled: 1-line block ×3, first 2 shown]
	v_mov_b32_e32 v26, v30
	v_fmac_f32_e32 v36, 0xbf3504f3, v29
	v_fmac_f32_e32 v26, 0x3f3504f3, v17
	v_mov_b32_e32 v29, v3
	v_fmac_f32_e32 v29, 0x3f3504f3, v5
	v_fmac_f32_e32 v26, 0xbf3504f3, v5
	v_fma_f32 v5, v6, 2.0, -v37
	v_fma_f32 v6, v20, 2.0, -v38
	;; [unrolled: 1-line block ×3, first 2 shown]
	v_fmac_f32_e32 v29, 0x3f3504f3, v17
	v_mov_b32_e32 v17, v5
	v_fma_f32 v20, v22, 2.0, -v39
	v_fmac_f32_e32 v17, 0xbf6c835e, v4
	v_mov_b32_e32 v22, v6
	v_sub_f32_e32 v8, v16, v8
	v_sub_f32_e32 v11, v23, v11
	;; [unrolled: 1-line block ×4, first 2 shown]
	v_fmac_f32_e32 v22, 0xbf6c835e, v20
	v_fmac_f32_e32 v17, 0xbec3ef15, v20
	v_fma_f32 v20, v23, 2.0, -v11
	v_fma_f32 v23, v32, 2.0, -v12
	;; [unrolled: 1-line block ×3, first 2 shown]
	v_sub_f32_e32 v10, v18, v10
	v_sub_f32_e32 v21, v9, v21
	v_sub_f32_e32 v15, v8, v15
	v_fma_f32 v16, v16, 2.0, -v8
	v_sub_f32_e32 v13, v25, v13
	v_sub_f32_e32 v14, v33, v14
	v_fma_f32 v9, v9, 2.0, -v21
	v_add_f32_e32 v12, v11, v12
	v_fma_f32 v8, v8, 2.0, -v15
	v_sub_f32_e32 v21, v10, v21
	v_fma_f32 v18, v18, 2.0, -v10
	v_fma_f32 v33, v33, 2.0, -v14
	;; [unrolled: 1-line block ×3, first 2 shown]
	v_add_f32_e32 v14, v13, v14
	v_fma_f32 v10, v10, 2.0, -v21
	v_fmac_f32_e32 v22, 0x3ec3ef15, v4
	v_mov_b32_e32 v4, v8
	v_fma_f32 v25, v25, 2.0, -v13
	v_fma_f32 v13, v13, 2.0, -v14
	v_fmac_f32_e32 v4, 0xbf3504f3, v10
	v_mov_b32_e32 v34, v11
	v_fma_f32 v28, v28, 2.0, -v27
	v_fmac_f32_e32 v34, 0xbf3504f3, v13
	v_fmac_f32_e32 v4, 0xbf3504f3, v13
	v_fma_f32 v13, v31, 2.0, -v24
	v_fma_f32 v3, v3, 2.0, -v29
	v_mov_b32_e32 v31, v28
	v_fma_f32 v30, v30, 2.0, -v26
	v_fmac_f32_e32 v34, 0x3f3504f3, v10
	v_mov_b32_e32 v10, v13
	v_fmac_f32_e32 v31, 0xbec3ef15, v3
	v_fmac_f32_e32 v10, 0xbec3ef15, v30
	;; [unrolled: 1-line block ×3, first 2 shown]
	v_mov_b32_e32 v30, v38
	v_fmac_f32_e32 v10, 0xbf6c835e, v3
	v_mov_b32_e32 v3, v37
	v_fmac_f32_e32 v30, 0x3ec3ef15, v39
	v_fmac_f32_e32 v3, 0x3ec3ef15, v36
	;; [unrolled: 1-line block ×3, first 2 shown]
	v_mov_b32_e32 v36, v15
	v_fmac_f32_e32 v3, 0xbf6c835e, v39
	v_fmac_f32_e32 v36, 0x3f3504f3, v21
	v_mov_b32_e32 v39, v12
	v_fmac_f32_e32 v39, 0x3f3504f3, v14
	v_fmac_f32_e32 v36, 0xbf3504f3, v14
	;; [unrolled: 3-line block ×4, first 2 shown]
	v_sub_f32_e32 v23, v16, v23
	v_sub_f32_e32 v29, v20, v32
	;; [unrolled: 1-line block ×3, first 2 shown]
	v_fma_f32 v16, v16, 2.0, -v23
	v_sub_f32_e32 v9, v25, v9
	v_fma_f32 v18, v18, 2.0, -v32
	v_fmac_f32_e32 v21, 0x3ec3ef15, v26
	v_lshl_or_b32 v26, v0, 4, v0
	v_fma_f32 v25, v25, 2.0, -v9
	v_sub_f32_e32 v18, v16, v18
	v_sub_f32_e32 v9, v23, v9
	v_and_b32_e32 v26, 0xf0f, v26
	v_fma_f32 v16, v16, 2.0, -v18
	v_fma_f32 v5, v5, 2.0, -v17
	;; [unrolled: 1-line block ×11, first 2 shown]
	v_lshl_add_u32 v26, v26, 2, 0
	s_barrier
	ds_write2_b32 v26, v16, v5 offset1:16
	ds_write2_b32 v26, v6, v8 offset0:32 offset1:48
	ds_write2_b32 v26, v11, v13 offset0:64 offset1:80
	;; [unrolled: 1-line block ×7, first 2 shown]
	s_waitcnt lgkmcnt(0)
	s_barrier
	ds_read2st64_b32 v[3:4], v7 offset1:4
	ds_read2st64_b32 v[5:6], v7 offset0:8 offset1:12
	ds_read2st64_b32 v[9:10], v7 offset0:16 offset1:20
	;; [unrolled: 1-line block ×7, first 2 shown]
	v_fma_f32 v20, v20, 2.0, -v29
	v_sub_f32_e32 v25, v20, v25
	v_fma_f32 v20, v20, 2.0, -v25
	v_add_f32_e32 v32, v29, v32
	v_fma_f32 v28, v28, 2.0, -v31
	v_fma_f32 v23, v29, 2.0, -v32
	;; [unrolled: 1-line block ×4, first 2 shown]
	s_waitcnt lgkmcnt(0)
	s_barrier
	ds_write2_b32 v26, v20, v33 offset1:16
	ds_write2_b32 v26, v40, v28 offset0:32 offset1:48
	ds_write2_b32 v26, v23, v29 offset0:64 offset1:80
	;; [unrolled: 1-line block ×7, first 2 shown]
	s_waitcnt lgkmcnt(0)
	s_barrier
	s_and_saveexec_b64 s[0:1], vcc
	s_cbranch_execz .LBB0_13
; %bb.12:
	v_mul_u32_u24_e32 v20, 15, v0
	v_lshlrev_b32_e32 v34, 3, v20
	global_load_dwordx4 v[20:23], v34, s[8:9] offset:1984
	global_load_dwordx4 v[24:27], v34, s[8:9] offset:1968
	;; [unrolled: 1-line block ×7, first 2 shown]
	global_load_dwordx2 v[32:33], v34, s[8:9] offset:2032
	v_mul_i32_i24_e32 v0, 0xffffffc4, v0
	v_add_u32_e32 v0, v19, v0
	ds_read2st64_b32 v[52:53], v0 offset0:40 offset1:44
	ds_read2st64_b32 v[54:55], v0 offset0:32 offset1:36
	;; [unrolled: 1-line block ×3, first 2 shown]
	v_lshlrev_b32_e32 v35, 3, v35
	s_waitcnt vmcnt(7) lgkmcnt(2)
	v_mul_f32_e32 v19, v52, v23
	v_mul_f32_e32 v34, v15, v23
	s_waitcnt lgkmcnt(1)
	v_mul_f32_e32 v23, v55, v21
	v_mul_f32_e32 v58, v18, v21
	v_fmac_f32_e32 v34, v22, v52
	v_fma_f32 v52, v18, v20, -v23
	v_fmac_f32_e32 v58, v20, v55
	ds_read2st64_b32 v[20:21], v0 offset0:48 offset1:52
	v_fma_f32 v59, v15, v22, -v19
	s_waitcnt vmcnt(6)
	v_mul_f32_e32 v55, v17, v27
	v_mul_f32_e32 v15, v54, v27
	v_fmac_f32_e32 v55, v54, v26
	v_fma_f32 v17, v17, v26, -v15
	v_mul_f32_e32 v26, v12, v25
	s_waitcnt lgkmcnt(1)
	v_mul_f32_e32 v15, v57, v25
	ds_read2st64_b32 v[18:19], v0 offset0:56 offset1:60
	v_fmac_f32_e32 v26, v57, v24
	v_fma_f32 v24, v12, v24, -v15
	ds_read2st64_b32 v[22:23], v0 offset0:16 offset1:20
	s_waitcnt vmcnt(5)
	v_mul_f32_e32 v12, v53, v29
	v_mul_f32_e32 v25, v16, v29
	v_fma_f32 v27, v16, v28, -v12
	ds_read2st64_b32 v[15:16], v0 offset0:8 offset1:12
	v_fmac_f32_e32 v25, v28, v53
	s_waitcnt lgkmcnt(3)
	v_mul_f32_e32 v12, v20, v31
	v_mul_f32_e32 v28, v13, v31
	v_fma_f32 v29, v13, v30, -v12
	v_fmac_f32_e32 v28, v30, v20
	ds_read2st64_b32 v[12:13], v0 offset1:4
	s_waitcnt vmcnt(4)
	v_mul_f32_e32 v30, v14, v37
	v_mul_f32_e32 v0, v7, v39
	v_fmac_f32_e32 v30, v21, v36
	v_mul_f32_e32 v21, v21, v37
	s_waitcnt lgkmcnt(3)
	v_mul_f32_e32 v20, v18, v39
	s_waitcnt vmcnt(3)
	v_mul_f32_e32 v31, v11, v43
	v_fma_f32 v14, v14, v36, -v21
	v_mul_f32_e32 v21, v56, v43
	v_fmac_f32_e32 v0, v18, v38
	s_waitcnt lgkmcnt(2)
	v_mul_f32_e32 v18, v23, v41
	v_mul_f32_e32 v36, v10, v41
	v_fmac_f32_e32 v31, v56, v42
	s_waitcnt vmcnt(2)
	v_mul_f32_e32 v39, v6, v45
	s_waitcnt vmcnt(1) lgkmcnt(1)
	v_mul_f32_e32 v41, v15, v51
	v_fma_f32 v11, v11, v42, -v21
	v_mul_f32_e32 v21, v5, v51
	s_waitcnt vmcnt(0)
	v_mul_f32_e32 v42, v8, v33
	v_fma_f32 v10, v10, v40, -v18
	v_mul_f32_e32 v18, v19, v33
	v_fma_f32 v7, v7, v38, -v20
	v_mul_f32_e32 v20, v22, v47
	v_mul_f32_e32 v38, v16, v45
	v_fmac_f32_e32 v39, v44, v16
	v_fma_f32 v16, v5, v50, -v41
	v_fmac_f32_e32 v21, v50, v15
	v_fmac_f32_e32 v42, v19, v32
	v_fma_f32 v5, v8, v32, -v18
	v_mul_f32_e32 v32, v4, v49
	v_mul_f32_e32 v37, v9, v47
	v_fmac_f32_e32 v36, v23, v40
	s_waitcnt lgkmcnt(0)
	v_mul_f32_e32 v23, v13, v49
	v_fma_f32 v9, v9, v46, -v20
	v_fma_f32 v20, v6, v44, -v38
	v_sub_f32_e32 v6, v11, v7
	v_sub_f32_e32 v7, v21, v34
	v_fmac_f32_e32 v32, v48, v13
	v_fmac_f32_e32 v37, v46, v22
	v_add_f32_e32 v22, v7, v6
	v_fma_f32 v23, v4, v48, -v23
	v_fma_f32 v11, v11, 2.0, -v6
	v_sub_f32_e32 v6, v10, v14
	v_sub_f32_e32 v14, v32, v58
	;; [unrolled: 1-line block ×8, first 2 shown]
	v_add_f32_e32 v43, v14, v6
	v_sub_f32_e32 v17, v3, v17
	v_sub_f32_e32 v15, v9, v29
	;; [unrolled: 1-line block ×4, first 2 shown]
	v_add_f32_e32 v41, v25, v5
	v_fma_f32 v42, v12, 2.0, -v18
	v_fma_f32 v10, v10, 2.0, -v6
	v_mov_b32_e32 v44, v43
	v_fma_f32 v12, v26, 2.0, -v4
	v_fma_f32 v26, v36, 2.0, -v30
	;; [unrolled: 1-line block ×3, first 2 shown]
	v_sub_f32_e32 v3, v37, v28
	v_fma_f32 v23, v23, 2.0, -v34
	v_add_f32_e32 v29, v15, v18
	v_sub_f32_e32 v33, v27, v4
	v_mov_b32_e32 v40, v38
	v_fmac_f32_e32 v44, 0x3f3504f3, v41
	v_fma_f32 v24, v24, 2.0, -v5
	v_fma_f32 v28, v37, 2.0, -v3
	v_sub_f32_e32 v37, v23, v10
	v_fma_f32 v10, v20, 2.0, -v27
	v_sub_f32_e32 v8, v16, v59
	v_sub_f32_e32 v0, v31, v0
	v_mov_b32_e32 v13, v29
	v_fmac_f32_e32 v40, 0x3f3504f3, v33
	v_fmac_f32_e32 v44, 0x3f3504f3, v33
	v_sub_f32_e32 v36, v17, v3
	v_sub_f32_e32 v20, v10, v24
	v_fma_f32 v24, v32, 2.0, -v14
	v_fma_f32 v32, v18, 2.0, -v29
	;; [unrolled: 1-line block ×4, first 2 shown]
	v_sub_f32_e32 v19, v8, v0
	v_fmac_f32_e32 v13, 0x3f3504f3, v22
	v_fmac_f32_e32 v40, 0xbf3504f3, v41
	v_fma_f32 v9, v9, 2.0, -v15
	v_fma_f32 v0, v31, 2.0, -v0
	v_fma_f32 v39, v39, 2.0, -v25
	v_fma_f32 v21, v21, 2.0, -v7
	v_fma_f32 v34, v34, 2.0, -v38
	v_fma_f32 v25, v25, 2.0, -v41
	v_mov_b32_e32 v41, v33
	v_fma_f32 v46, v17, 2.0, -v36
	v_fmac_f32_e32 v13, 0x3f3504f3, v19
	v_mov_b32_e32 v15, v36
	v_fma_f32 v16, v16, 2.0, -v8
	v_fma_f32 v8, v8, 2.0, -v19
	v_mov_b32_e32 v27, v34
	v_fmac_f32_e32 v41, 0xbf3504f3, v25
	v_mov_b32_e32 v47, v46
	v_sub_f32_e32 v48, v30, v9
	v_sub_f32_e32 v0, v21, v0
	v_mov_b32_e32 v4, v13
	v_fmac_f32_e32 v15, 0x3f3504f3, v19
	v_sub_f32_e32 v12, v39, v12
	v_fma_f32 v7, v7, 2.0, -v22
	v_fmac_f32_e32 v27, 0xbf3504f3, v18
	v_mov_b32_e32 v45, v32
	v_fmac_f32_e32 v41, 0x3f3504f3, v18
	v_fmac_f32_e32 v47, 0xbf3504f3, v8
	v_fma_f32 v18, v21, 2.0, -v0
	v_sub_f32_e32 v0, v48, v0
	v_fmac_f32_e32 v4, 0x3f6c835e, v44
	v_fmac_f32_e32 v15, 0xbf3504f3, v22
	v_sub_f32_e32 v11, v16, v11
	v_sub_f32_e32 v28, v42, v28
	;; [unrolled: 1-line block ×4, first 2 shown]
	v_fmac_f32_e32 v45, 0xbf3504f3, v7
	v_fmac_f32_e32 v47, 0xbf3504f3, v7
	v_mov_b32_e32 v7, v0
	v_fmac_f32_e32 v4, 0x3ec3ef15, v40
	v_add_f32_e32 v31, v11, v28
	v_add_f32_e32 v22, v20, v26
	v_fma_f32 v17, v10, 2.0, -v20
	v_fmac_f32_e32 v7, 0x3f3504f3, v19
	v_fma_f32 v20, v29, 2.0, -v13
	v_fma_f32 v29, v36, 2.0, -v15
	;; [unrolled: 1-line block ×3, first 2 shown]
	v_fmac_f32_e32 v27, 0xbf3504f3, v25
	v_fmac_f32_e32 v45, 0x3f3504f3, v8
	v_mov_b32_e32 v8, v31
	v_fma_f32 v25, v16, 2.0, -v11
	v_fmac_f32_e32 v7, 0xbf3504f3, v22
	v_fma_f32 v11, v38, 2.0, -v40
	v_mov_b32_e32 v13, v29
	v_fmac_f32_e32 v8, 0x3f3504f3, v22
	v_fma_f32 v9, v0, 2.0, -v7
	v_fma_f32 v21, v43, 2.0, -v44
	v_mov_b32_e32 v14, v20
	v_fmac_f32_e32 v13, 0xbec3ef15, v11
	v_fma_f32 v0, v48, 2.0, -v0
	v_fmac_f32_e32 v8, 0x3f3504f3, v19
	v_fmac_f32_e32 v14, 0xbec3ef15, v21
	v_fma_f32 v36, v42, 2.0, -v28
	v_fmac_f32_e32 v13, 0xbf6c835e, v21
	v_fma_f32 v28, v28, 2.0, -v31
	v_fma_f32 v19, v37, 2.0, -v19
	v_mov_b32_e32 v21, v0
	v_fma_f32 v43, v24, 2.0, -v26
	v_fma_f32 v26, v26, 2.0, -v22
	v_mov_b32_e32 v22, v28
	v_fmac_f32_e32 v21, 0xbf3504f3, v19
	v_mov_b32_e32 v3, v15
	v_fma_f32 v10, v31, 2.0, -v8
	v_fma_f32 v31, v30, 2.0, -v48
	v_fmac_f32_e32 v22, 0xbf3504f3, v26
	v_fmac_f32_e32 v21, 0xbf3504f3, v26
	;; [unrolled: 1-line block ×3, first 2 shown]
	v_fma_f32 v40, v23, 2.0, -v37
	v_fmac_f32_e32 v22, 0x3f3504f3, v19
	v_sub_f32_e32 v37, v31, v25
	v_fma_f32 v25, v0, 2.0, -v21
	v_fma_f32 v0, v32, 2.0, -v45
	;; [unrolled: 1-line block ×4, first 2 shown]
	v_mov_b32_e32 v28, v0
	v_sub_f32_e32 v42, v40, v17
	v_fma_f32 v17, v29, 2.0, -v13
	v_fma_f32 v29, v34, 2.0, -v27
	v_fmac_f32_e32 v28, 0xbf6c835e, v32
	v_fma_f32 v39, v39, 2.0, -v12
	v_mov_b32_e32 v12, v45
	v_fmac_f32_e32 v28, 0x3ec3ef15, v29
	v_fmac_f32_e32 v12, 0x3ec3ef15, v41
	;; [unrolled: 1-line block ×3, first 2 shown]
	v_mov_b32_e32 v11, v47
	v_fma_f32 v30, v0, 2.0, -v28
	v_fma_f32 v0, v46, 2.0, -v47
	v_fmac_f32_e32 v12, 0x3f6c835e, v27
	v_fmac_f32_e32 v11, 0x3ec3ef15, v27
	v_mov_b32_e32 v27, v0
	v_fmac_f32_e32 v27, 0xbf6c835e, v29
	v_sub_f32_e32 v38, v36, v18
	v_sub_f32_e32 v39, v43, v39
	v_fmac_f32_e32 v27, 0xbec3ef15, v32
	v_fma_f32 v29, v0, 2.0, -v27
	v_fma_f32 v0, v36, 2.0, -v38
	;; [unrolled: 1-line block ×3, first 2 shown]
	v_sub_f32_e32 v32, v0, v32
	v_fma_f32 v34, v0, 2.0, -v32
	v_fma_f32 v0, v31, 2.0, -v37
	;; [unrolled: 1-line block ×3, first 2 shown]
	v_sub_f32_e32 v31, v0, v31
	v_fma_f32 v33, v0, 2.0, -v31
	v_mov_b32_e32 v0, s3
	v_add_co_u32_e32 v36, vcc, s2, v1
	v_addc_co_u32_e32 v2, vcc, v0, v2, vcc
	v_add_co_u32_e32 v0, vcc, v36, v35
	v_addc_co_u32_e32 v1, vcc, 0, v2, vcc
	global_store_dwordx2 v[0:1], v[33:34], off
	global_store_dwordx2 v[0:1], v[29:30], off offset:2048
	v_or_b32_e32 v0, 0x1000, v35
	v_add_co_u32_e32 v0, vcc, v36, v0
	v_addc_co_u32_e32 v1, vcc, 0, v2, vcc
	global_store_dwordx2 v[0:1], v[25:26], off
	v_or_b32_e32 v0, 0x1800, v35
	v_add_co_u32_e32 v0, vcc, v36, v0
	v_fma_f32 v18, v20, 2.0, -v14
	v_addc_co_u32_e32 v1, vcc, 0, v2, vcc
	global_store_dwordx2 v[0:1], v[17:18], off
	v_or_b32_e32 v0, 0x2000, v35
	v_add_f32_e32 v20, v38, v42
	v_sub_f32_e32 v19, v37, v39
	v_add_co_u32_e32 v0, vcc, v36, v0
	v_fma_f32 v24, v38, 2.0, -v20
	v_fma_f32 v23, v37, 2.0, -v19
	v_addc_co_u32_e32 v1, vcc, 0, v2, vcc
	global_store_dwordx2 v[0:1], v[23:24], off
	v_or_b32_e32 v0, 0x2800, v35
	v_fmac_f32_e32 v3, 0xbec3ef15, v44
	v_fmac_f32_e32 v11, 0xbf6c835e, v41
	v_add_co_u32_e32 v0, vcc, v36, v0
	v_fma_f32 v5, v15, 2.0, -v3
	v_fma_f32 v16, v45, 2.0, -v12
	;; [unrolled: 1-line block ×3, first 2 shown]
	v_addc_co_u32_e32 v1, vcc, 0, v2, vcc
	global_store_dwordx2 v[0:1], v[15:16], off
	v_or_b32_e32 v0, 0x3000, v35
	v_add_co_u32_e32 v0, vcc, v36, v0
	v_addc_co_u32_e32 v1, vcc, 0, v2, vcc
	global_store_dwordx2 v[0:1], v[9:10], off
	v_or_b32_e32 v0, 0x3800, v35
	v_add_co_u32_e32 v0, vcc, v36, v0
	;; [unrolled: 4-line block ×10, first 2 shown]
	v_addc_co_u32_e32 v1, vcc, 0, v2, vcc
	global_store_dwordx2 v[0:1], v[3:4], off
.LBB0_13:
	s_endpgm
	.section	.rodata,"a",@progbits
	.p2align	6, 0x0
	.amdhsa_kernel fft_rtc_fwd_len4096_factors_16_16_16_wgs_256_tpt_256_halfLds_sp_ip_CI_unitstride_sbrr_dirReg
		.amdhsa_group_segment_fixed_size 0
		.amdhsa_private_segment_fixed_size 0
		.amdhsa_kernarg_size 88
		.amdhsa_user_sgpr_count 6
		.amdhsa_user_sgpr_private_segment_buffer 1
		.amdhsa_user_sgpr_dispatch_ptr 0
		.amdhsa_user_sgpr_queue_ptr 0
		.amdhsa_user_sgpr_kernarg_segment_ptr 1
		.amdhsa_user_sgpr_dispatch_id 0
		.amdhsa_user_sgpr_flat_scratch_init 0
		.amdhsa_user_sgpr_private_segment_size 0
		.amdhsa_uses_dynamic_stack 0
		.amdhsa_system_sgpr_private_segment_wavefront_offset 0
		.amdhsa_system_sgpr_workgroup_id_x 1
		.amdhsa_system_sgpr_workgroup_id_y 0
		.amdhsa_system_sgpr_workgroup_id_z 0
		.amdhsa_system_sgpr_workgroup_info 0
		.amdhsa_system_vgpr_workitem_id 0
		.amdhsa_next_free_vgpr 63
		.amdhsa_next_free_sgpr 22
		.amdhsa_reserve_vcc 1
		.amdhsa_reserve_flat_scratch 0
		.amdhsa_float_round_mode_32 0
		.amdhsa_float_round_mode_16_64 0
		.amdhsa_float_denorm_mode_32 3
		.amdhsa_float_denorm_mode_16_64 3
		.amdhsa_dx10_clamp 1
		.amdhsa_ieee_mode 1
		.amdhsa_fp16_overflow 0
		.amdhsa_exception_fp_ieee_invalid_op 0
		.amdhsa_exception_fp_denorm_src 0
		.amdhsa_exception_fp_ieee_div_zero 0
		.amdhsa_exception_fp_ieee_overflow 0
		.amdhsa_exception_fp_ieee_underflow 0
		.amdhsa_exception_fp_ieee_inexact 0
		.amdhsa_exception_int_div_zero 0
	.end_amdhsa_kernel
	.text
.Lfunc_end0:
	.size	fft_rtc_fwd_len4096_factors_16_16_16_wgs_256_tpt_256_halfLds_sp_ip_CI_unitstride_sbrr_dirReg, .Lfunc_end0-fft_rtc_fwd_len4096_factors_16_16_16_wgs_256_tpt_256_halfLds_sp_ip_CI_unitstride_sbrr_dirReg
                                        ; -- End function
	.section	.AMDGPU.csdata,"",@progbits
; Kernel info:
; codeLenInByte = 6752
; NumSgprs: 26
; NumVgprs: 63
; ScratchSize: 0
; MemoryBound: 0
; FloatMode: 240
; IeeeMode: 1
; LDSByteSize: 0 bytes/workgroup (compile time only)
; SGPRBlocks: 3
; VGPRBlocks: 15
; NumSGPRsForWavesPerEU: 26
; NumVGPRsForWavesPerEU: 63
; Occupancy: 4
; WaveLimiterHint : 1
; COMPUTE_PGM_RSRC2:SCRATCH_EN: 0
; COMPUTE_PGM_RSRC2:USER_SGPR: 6
; COMPUTE_PGM_RSRC2:TRAP_HANDLER: 0
; COMPUTE_PGM_RSRC2:TGID_X_EN: 1
; COMPUTE_PGM_RSRC2:TGID_Y_EN: 0
; COMPUTE_PGM_RSRC2:TGID_Z_EN: 0
; COMPUTE_PGM_RSRC2:TIDIG_COMP_CNT: 0
	.type	__hip_cuid_42fe146c84dd299,@object ; @__hip_cuid_42fe146c84dd299
	.section	.bss,"aw",@nobits
	.globl	__hip_cuid_42fe146c84dd299
__hip_cuid_42fe146c84dd299:
	.byte	0                               ; 0x0
	.size	__hip_cuid_42fe146c84dd299, 1

	.ident	"AMD clang version 19.0.0git (https://github.com/RadeonOpenCompute/llvm-project roc-6.4.0 25133 c7fe45cf4b819c5991fe208aaa96edf142730f1d)"
	.section	".note.GNU-stack","",@progbits
	.addrsig
	.addrsig_sym __hip_cuid_42fe146c84dd299
	.amdgpu_metadata
---
amdhsa.kernels:
  - .args:
      - .actual_access:  read_only
        .address_space:  global
        .offset:         0
        .size:           8
        .value_kind:     global_buffer
      - .offset:         8
        .size:           8
        .value_kind:     by_value
      - .actual_access:  read_only
        .address_space:  global
        .offset:         16
        .size:           8
        .value_kind:     global_buffer
      - .actual_access:  read_only
        .address_space:  global
        .offset:         24
        .size:           8
        .value_kind:     global_buffer
      - .offset:         32
        .size:           8
        .value_kind:     by_value
      - .actual_access:  read_only
        .address_space:  global
        .offset:         40
        .size:           8
        .value_kind:     global_buffer
      - .actual_access:  read_only
        .address_space:  global
        .offset:         48
        .size:           8
        .value_kind:     global_buffer
      - .offset:         56
        .size:           4
        .value_kind:     by_value
      - .actual_access:  read_only
        .address_space:  global
        .offset:         64
        .size:           8
        .value_kind:     global_buffer
      - .actual_access:  read_only
        .address_space:  global
        .offset:         72
        .size:           8
        .value_kind:     global_buffer
      - .address_space:  global
        .offset:         80
        .size:           8
        .value_kind:     global_buffer
    .group_segment_fixed_size: 0
    .kernarg_segment_align: 8
    .kernarg_segment_size: 88
    .language:       OpenCL C
    .language_version:
      - 2
      - 0
    .max_flat_workgroup_size: 256
    .name:           fft_rtc_fwd_len4096_factors_16_16_16_wgs_256_tpt_256_halfLds_sp_ip_CI_unitstride_sbrr_dirReg
    .private_segment_fixed_size: 0
    .sgpr_count:     26
    .sgpr_spill_count: 0
    .symbol:         fft_rtc_fwd_len4096_factors_16_16_16_wgs_256_tpt_256_halfLds_sp_ip_CI_unitstride_sbrr_dirReg.kd
    .uniform_work_group_size: 1
    .uses_dynamic_stack: false
    .vgpr_count:     63
    .vgpr_spill_count: 0
    .wavefront_size: 64
amdhsa.target:   amdgcn-amd-amdhsa--gfx906
amdhsa.version:
  - 1
  - 2
...

	.end_amdgpu_metadata
